;; amdgpu-corpus repo=ROCm/rocFFT kind=compiled arch=gfx1030 opt=O3
	.text
	.amdgcn_target "amdgcn-amd-amdhsa--gfx1030"
	.amdhsa_code_object_version 6
	.protected	fft_rtc_back_len1452_factors_11_3_11_4_wgs_132_tpt_132_halfLds_dp_op_CI_CI_sbrr_dirReg ; -- Begin function fft_rtc_back_len1452_factors_11_3_11_4_wgs_132_tpt_132_halfLds_dp_op_CI_CI_sbrr_dirReg
	.globl	fft_rtc_back_len1452_factors_11_3_11_4_wgs_132_tpt_132_halfLds_dp_op_CI_CI_sbrr_dirReg
	.p2align	8
	.type	fft_rtc_back_len1452_factors_11_3_11_4_wgs_132_tpt_132_halfLds_dp_op_CI_CI_sbrr_dirReg,@function
fft_rtc_back_len1452_factors_11_3_11_4_wgs_132_tpt_132_halfLds_dp_op_CI_CI_sbrr_dirReg: ; @fft_rtc_back_len1452_factors_11_3_11_4_wgs_132_tpt_132_halfLds_dp_op_CI_CI_sbrr_dirReg
; %bb.0:
	s_clause 0x2
	s_load_dwordx4 s[16:19], s[4:5], 0x18
	s_load_dwordx4 s[8:11], s[4:5], 0x0
	;; [unrolled: 1-line block ×3, first 2 shown]
	v_mul_u32_u24_e32 v2, 0x1f1, v0
	v_mov_b32_e32 v1, 0
	v_mov_b32_e32 v4, 0
	;; [unrolled: 1-line block ×3, first 2 shown]
	s_waitcnt lgkmcnt(0)
	s_load_dwordx2 s[20:21], s[16:17], 0x0
	s_load_dwordx2 s[2:3], s[18:19], 0x0
	v_cmp_lt_u64_e64 s0, s[10:11], 2
	v_add_nc_u32_sdwa v6, s6, v2 dst_sel:DWORD dst_unused:UNUSED_PAD src0_sel:DWORD src1_sel:WORD_1
	v_mov_b32_e32 v7, v1
	s_and_b32 vcc_lo, exec_lo, s0
	s_cbranch_vccnz .LBB0_8
; %bb.1:
	s_load_dwordx2 s[0:1], s[4:5], 0x10
	v_mov_b32_e32 v4, 0
	v_mov_b32_e32 v5, 0
	s_add_u32 s6, s18, 8
	s_addc_u32 s7, s19, 0
	s_add_u32 s22, s16, 8
	s_addc_u32 s23, s17, 0
	v_mov_b32_e32 v57, v5
	v_mov_b32_e32 v56, v4
	s_mov_b64 s[26:27], 1
	s_waitcnt lgkmcnt(0)
	s_add_u32 s24, s0, 8
	s_addc_u32 s25, s1, 0
.LBB0_2:                                ; =>This Inner Loop Header: Depth=1
	s_load_dwordx2 s[28:29], s[24:25], 0x0
                                        ; implicit-def: $vgpr58_vgpr59
	s_mov_b32 s0, exec_lo
	s_waitcnt lgkmcnt(0)
	v_or_b32_e32 v2, s29, v7
	v_cmpx_ne_u64_e32 0, v[1:2]
	s_xor_b32 s1, exec_lo, s0
	s_cbranch_execz .LBB0_4
; %bb.3:                                ;   in Loop: Header=BB0_2 Depth=1
	v_cvt_f32_u32_e32 v2, s28
	v_cvt_f32_u32_e32 v3, s29
	s_sub_u32 s0, 0, s28
	s_subb_u32 s30, 0, s29
	v_fmac_f32_e32 v2, 0x4f800000, v3
	v_rcp_f32_e32 v2, v2
	v_mul_f32_e32 v2, 0x5f7ffffc, v2
	v_mul_f32_e32 v3, 0x2f800000, v2
	v_trunc_f32_e32 v3, v3
	v_fmac_f32_e32 v2, 0xcf800000, v3
	v_cvt_u32_f32_e32 v3, v3
	v_cvt_u32_f32_e32 v2, v2
	v_mul_lo_u32 v8, s0, v3
	v_mul_hi_u32 v9, s0, v2
	v_mul_lo_u32 v10, s30, v2
	v_add_nc_u32_e32 v8, v9, v8
	v_mul_lo_u32 v9, s0, v2
	v_add_nc_u32_e32 v8, v8, v10
	v_mul_hi_u32 v10, v2, v9
	v_mul_lo_u32 v11, v2, v8
	v_mul_hi_u32 v12, v2, v8
	v_mul_hi_u32 v13, v3, v9
	v_mul_lo_u32 v9, v3, v9
	v_mul_hi_u32 v14, v3, v8
	v_mul_lo_u32 v8, v3, v8
	v_add_co_u32 v10, vcc_lo, v10, v11
	v_add_co_ci_u32_e32 v11, vcc_lo, 0, v12, vcc_lo
	v_add_co_u32 v9, vcc_lo, v10, v9
	v_add_co_ci_u32_e32 v9, vcc_lo, v11, v13, vcc_lo
	v_add_co_ci_u32_e32 v10, vcc_lo, 0, v14, vcc_lo
	v_add_co_u32 v8, vcc_lo, v9, v8
	v_add_co_ci_u32_e32 v9, vcc_lo, 0, v10, vcc_lo
	v_add_co_u32 v2, vcc_lo, v2, v8
	v_add_co_ci_u32_e32 v3, vcc_lo, v3, v9, vcc_lo
	v_mul_hi_u32 v8, s0, v2
	v_mul_lo_u32 v10, s30, v2
	v_mul_lo_u32 v9, s0, v3
	v_add_nc_u32_e32 v8, v8, v9
	v_mul_lo_u32 v9, s0, v2
	v_add_nc_u32_e32 v8, v8, v10
	v_mul_hi_u32 v10, v2, v9
	v_mul_lo_u32 v11, v2, v8
	v_mul_hi_u32 v12, v2, v8
	v_mul_hi_u32 v13, v3, v9
	v_mul_lo_u32 v9, v3, v9
	v_mul_hi_u32 v14, v3, v8
	v_mul_lo_u32 v8, v3, v8
	v_add_co_u32 v10, vcc_lo, v10, v11
	v_add_co_ci_u32_e32 v11, vcc_lo, 0, v12, vcc_lo
	v_add_co_u32 v9, vcc_lo, v10, v9
	v_add_co_ci_u32_e32 v9, vcc_lo, v11, v13, vcc_lo
	v_add_co_ci_u32_e32 v10, vcc_lo, 0, v14, vcc_lo
	v_add_co_u32 v8, vcc_lo, v9, v8
	v_add_co_ci_u32_e32 v9, vcc_lo, 0, v10, vcc_lo
	v_add_co_u32 v8, vcc_lo, v2, v8
	v_add_co_ci_u32_e32 v10, vcc_lo, v3, v9, vcc_lo
	v_mul_hi_u32 v12, v6, v8
	v_mad_u64_u32 v[8:9], null, v7, v8, 0
	v_mad_u64_u32 v[2:3], null, v6, v10, 0
	v_mad_u64_u32 v[10:11], null, v7, v10, 0
	v_add_co_u32 v2, vcc_lo, v12, v2
	v_add_co_ci_u32_e32 v3, vcc_lo, 0, v3, vcc_lo
	v_add_co_u32 v2, vcc_lo, v2, v8
	v_add_co_ci_u32_e32 v2, vcc_lo, v3, v9, vcc_lo
	v_add_co_ci_u32_e32 v3, vcc_lo, 0, v11, vcc_lo
	v_add_co_u32 v8, vcc_lo, v2, v10
	v_add_co_ci_u32_e32 v9, vcc_lo, 0, v3, vcc_lo
	v_mul_lo_u32 v10, s29, v8
	v_mad_u64_u32 v[2:3], null, s28, v8, 0
	v_mul_lo_u32 v11, s28, v9
	v_sub_co_u32 v2, vcc_lo, v6, v2
	v_add3_u32 v3, v3, v11, v10
	v_sub_nc_u32_e32 v10, v7, v3
	v_subrev_co_ci_u32_e64 v10, s0, s29, v10, vcc_lo
	v_add_co_u32 v11, s0, v8, 2
	v_add_co_ci_u32_e64 v12, s0, 0, v9, s0
	v_sub_co_u32 v13, s0, v2, s28
	v_sub_co_ci_u32_e32 v3, vcc_lo, v7, v3, vcc_lo
	v_subrev_co_ci_u32_e64 v10, s0, 0, v10, s0
	v_cmp_le_u32_e32 vcc_lo, s28, v13
	v_cmp_eq_u32_e64 s0, s29, v3
	v_cndmask_b32_e64 v13, 0, -1, vcc_lo
	v_cmp_le_u32_e32 vcc_lo, s29, v10
	v_cndmask_b32_e64 v14, 0, -1, vcc_lo
	v_cmp_le_u32_e32 vcc_lo, s28, v2
	;; [unrolled: 2-line block ×3, first 2 shown]
	v_cndmask_b32_e64 v15, 0, -1, vcc_lo
	v_cmp_eq_u32_e32 vcc_lo, s29, v10
	v_cndmask_b32_e64 v2, v15, v2, s0
	v_cndmask_b32_e32 v10, v14, v13, vcc_lo
	v_add_co_u32 v13, vcc_lo, v8, 1
	v_add_co_ci_u32_e32 v14, vcc_lo, 0, v9, vcc_lo
	v_cmp_ne_u32_e32 vcc_lo, 0, v10
	v_cndmask_b32_e32 v3, v14, v12, vcc_lo
	v_cndmask_b32_e32 v10, v13, v11, vcc_lo
	v_cmp_ne_u32_e32 vcc_lo, 0, v2
	v_cndmask_b32_e32 v59, v9, v3, vcc_lo
	v_cndmask_b32_e32 v58, v8, v10, vcc_lo
.LBB0_4:                                ;   in Loop: Header=BB0_2 Depth=1
	s_andn2_saveexec_b32 s0, s1
	s_cbranch_execz .LBB0_6
; %bb.5:                                ;   in Loop: Header=BB0_2 Depth=1
	v_cvt_f32_u32_e32 v2, s28
	s_sub_i32 s1, 0, s28
	v_mov_b32_e32 v59, v1
	v_rcp_iflag_f32_e32 v2, v2
	v_mul_f32_e32 v2, 0x4f7ffffe, v2
	v_cvt_u32_f32_e32 v2, v2
	v_mul_lo_u32 v3, s1, v2
	v_mul_hi_u32 v3, v2, v3
	v_add_nc_u32_e32 v2, v2, v3
	v_mul_hi_u32 v2, v6, v2
	v_mul_lo_u32 v3, v2, s28
	v_add_nc_u32_e32 v8, 1, v2
	v_sub_nc_u32_e32 v3, v6, v3
	v_subrev_nc_u32_e32 v9, s28, v3
	v_cmp_le_u32_e32 vcc_lo, s28, v3
	v_cndmask_b32_e32 v3, v3, v9, vcc_lo
	v_cndmask_b32_e32 v2, v2, v8, vcc_lo
	v_cmp_le_u32_e32 vcc_lo, s28, v3
	v_add_nc_u32_e32 v8, 1, v2
	v_cndmask_b32_e32 v58, v2, v8, vcc_lo
.LBB0_6:                                ;   in Loop: Header=BB0_2 Depth=1
	s_or_b32 exec_lo, exec_lo, s0
	v_mul_lo_u32 v8, v59, s28
	v_mul_lo_u32 v9, v58, s29
	s_load_dwordx2 s[0:1], s[22:23], 0x0
	v_mad_u64_u32 v[2:3], null, v58, s28, 0
	s_load_dwordx2 s[28:29], s[6:7], 0x0
	s_add_u32 s26, s26, 1
	s_addc_u32 s27, s27, 0
	s_add_u32 s6, s6, 8
	s_addc_u32 s7, s7, 0
	s_add_u32 s22, s22, 8
	v_add3_u32 v3, v3, v9, v8
	v_sub_co_u32 v2, vcc_lo, v6, v2
	s_addc_u32 s23, s23, 0
	s_add_u32 s24, s24, 8
	v_sub_co_ci_u32_e32 v3, vcc_lo, v7, v3, vcc_lo
	s_addc_u32 s25, s25, 0
	s_waitcnt lgkmcnt(0)
	v_mul_lo_u32 v6, s0, v3
	v_mul_lo_u32 v7, s1, v2
	v_mad_u64_u32 v[4:5], null, s0, v2, v[4:5]
	v_mul_lo_u32 v3, s28, v3
	v_mul_lo_u32 v8, s29, v2
	v_mad_u64_u32 v[56:57], null, s28, v2, v[56:57]
	v_cmp_ge_u64_e64 s0, s[26:27], s[10:11]
	v_add3_u32 v5, v7, v5, v6
	v_add3_u32 v57, v8, v57, v3
	s_and_b32 vcc_lo, exec_lo, s0
	s_cbranch_vccnz .LBB0_9
; %bb.7:                                ;   in Loop: Header=BB0_2 Depth=1
	v_mov_b32_e32 v6, v58
	v_mov_b32_e32 v7, v59
	s_branch .LBB0_2
.LBB0_8:
	v_mov_b32_e32 v57, v5
	v_mov_b32_e32 v59, v7
	;; [unrolled: 1-line block ×4, first 2 shown]
.LBB0_9:
	s_load_dwordx2 s[0:1], s[4:5], 0x28
	v_mul_hi_u32 v1, 0x1f07c20, v0
	s_lshl_b64 s[6:7], s[10:11], 3
                                        ; implicit-def: $vgpr74
                                        ; implicit-def: $vgpr76
                                        ; implicit-def: $vgpr75
                                        ; implicit-def: $vgpr72
	s_add_u32 s4, s18, s6
	s_addc_u32 s5, s19, s7
	s_waitcnt lgkmcnt(0)
	v_cmp_gt_u64_e32 vcc_lo, s[0:1], v[58:59]
	v_cmp_le_u64_e64 s0, s[0:1], v[58:59]
	s_and_saveexec_b32 s1, s0
	s_xor_b32 s0, exec_lo, s1
; %bb.10:
	v_mul_u32_u24_e32 v1, 0x84, v1
                                        ; implicit-def: $vgpr4_vgpr5
	v_sub_nc_u32_e32 v74, v0, v1
                                        ; implicit-def: $vgpr1
                                        ; implicit-def: $vgpr0
	v_add_nc_u32_e32 v76, 0x84, v74
	v_add_nc_u32_e32 v75, 0x108, v74
	;; [unrolled: 1-line block ×3, first 2 shown]
; %bb.11:
	s_or_saveexec_b32 s10, s0
                                        ; implicit-def: $vgpr18_vgpr19
                                        ; implicit-def: $vgpr22_vgpr23
                                        ; implicit-def: $vgpr38_vgpr39
                                        ; implicit-def: $vgpr34_vgpr35
                                        ; implicit-def: $vgpr10_vgpr11
                                        ; implicit-def: $vgpr6_vgpr7
                                        ; implicit-def: $vgpr14_vgpr15
                                        ; implicit-def: $vgpr26_vgpr27
                                        ; implicit-def: $vgpr42_vgpr43
                                        ; implicit-def: $vgpr30_vgpr31
                                        ; implicit-def: $vgpr2_vgpr3
	s_xor_b32 exec_lo, exec_lo, s10
	s_cbranch_execz .LBB0_13
; %bb.12:
	s_add_u32 s0, s16, s6
	s_addc_u32 s1, s17, s7
	v_mul_u32_u24_e32 v1, 0x84, v1
	s_load_dwordx2 s[0:1], s[0:1], 0x0
	v_lshlrev_b64 v[4:5], 4, v[4:5]
	v_sub_nc_u32_e32 v74, v0, v1
	v_add_nc_u32_e32 v76, 0x84, v74
	v_mad_u64_u32 v[0:1], null, s20, v74, 0
	v_add_nc_u32_e32 v75, 0x108, v74
	v_add_nc_u32_e32 v72, 0x18c, v74
	v_mad_u64_u32 v[2:3], null, s20, v76, 0
	v_add_nc_u32_e32 v20, 0x210, v74
	v_mad_u64_u32 v[6:7], null, s20, v75, 0
	v_mad_u64_u32 v[10:11], null, s20, v72, 0
	s_waitcnt lgkmcnt(0)
	v_mul_lo_u32 v15, s1, v58
	v_mul_lo_u32 v16, s0, v59
	v_mad_u64_u32 v[8:9], null, s0, v58, 0
	v_mad_u64_u32 v[12:13], null, s21, v74, v[1:2]
	;; [unrolled: 1-line block ×3, first 2 shown]
	v_add_nc_u32_e32 v34, 0x39c, v74
	v_add_nc_u32_e32 v35, 0x420, v74
	v_add3_u32 v9, v9, v16, v15
	v_mad_u64_u32 v[15:16], null, s21, v76, v[3:4]
	v_mov_b32_e32 v1, v12
	v_add_nc_u32_e32 v12, 0x294, v74
	v_lshlrev_b64 v[8:9], 4, v[8:9]
	v_add_nc_u32_e32 v44, 0x4a4, v74
	v_add_nc_u32_e32 v45, 0x528, v74
	v_lshlrev_b64 v[0:1], 4, v[0:1]
	v_mov_b32_e32 v3, v15
	v_mad_u64_u32 v[24:25], null, s20, v12, 0
	v_mad_u64_u32 v[16:17], null, s21, v75, v[7:8]
	v_add_co_u32 v7, s0, s12, v8
	v_add_co_ci_u32_e64 v8, s0, s13, v9, s0
	v_lshlrev_b64 v[2:3], 4, v[2:3]
	v_add_co_u32 v32, s0, v7, v4
	v_add_co_ci_u32_e64 v33, s0, v8, v5, s0
	v_mad_u64_u32 v[8:9], null, s21, v72, v[11:12]
	v_add_co_u32 v0, s0, v32, v0
	v_add_co_ci_u32_e64 v1, s0, v33, v1, s0
	v_add_co_u32 v4, s0, v32, v2
	v_mov_b32_e32 v7, v16
	v_mov_b32_e32 v9, v14
	v_add_co_ci_u32_e64 v5, s0, v33, v3, s0
	v_mov_b32_e32 v11, v8
	s_clause 0x1
	global_load_dwordx4 v[0:3], v[0:1], off
	global_load_dwordx4 v[16:19], v[4:5], off
	v_lshlrev_b64 v[4:5], 4, v[6:7]
	v_mad_u64_u32 v[6:7], null, s21, v20, v[9:10]
	v_lshlrev_b64 v[8:9], 4, v[10:11]
	v_mov_b32_e32 v7, v25
	v_add_nc_u32_e32 v15, 0x318, v74
	v_add_co_u32 v4, s0, v32, v4
	v_add_co_ci_u32_e64 v5, s0, v33, v5, s0
	v_mov_b32_e32 v14, v6
	v_mad_u64_u32 v[6:7], null, s21, v12, v[7:8]
	v_mad_u64_u32 v[11:12], null, s20, v15, 0
	v_add_co_u32 v7, s0, v32, v8
	v_add_co_ci_u32_e64 v8, s0, v33, v9, s0
	v_mov_b32_e32 v25, v6
	v_lshlrev_b64 v[9:10], 4, v[13:14]
	s_clause 0x1
	global_load_dwordx4 v[20:23], v[4:5], off
	global_load_dwordx4 v[28:31], v[7:8], off
	v_mov_b32_e32 v6, v12
	v_mad_u64_u32 v[13:14], null, s20, v34, 0
	v_lshlrev_b64 v[7:8], 4, v[24:25]
	v_add_co_u32 v4, s0, v32, v9
	v_add_co_ci_u32_e64 v5, s0, v33, v10, s0
	v_mad_u64_u32 v[24:25], null, s20, v35, 0
	v_mad_u64_u32 v[9:10], null, s21, v15, v[6:7]
	v_add_co_u32 v6, s0, v32, v7
	v_add_co_ci_u32_e64 v7, s0, v33, v8, s0
	v_mov_b32_e32 v8, v14
	v_mad_u64_u32 v[26:27], null, s20, v44, 0
	v_mov_b32_e32 v12, v9
	v_mov_b32_e32 v9, v25
	s_clause 0x1
	global_load_dwordx4 v[40:43], v[4:5], off
	global_load_dwordx4 v[36:39], v[6:7], off
	v_lshlrev_b64 v[5:6], 4, v[11:12]
	v_mad_u64_u32 v[14:15], null, s21, v34, v[8:9]
	v_mad_u64_u32 v[8:9], null, s21, v35, v[9:10]
	;; [unrolled: 1-line block ×3, first 2 shown]
	v_mov_b32_e32 v4, v27
	v_mov_b32_e32 v25, v8
	v_mad_u64_u32 v[7:8], null, s21, v44, v[4:5]
	v_mov_b32_e32 v4, v10
	v_add_co_u32 v5, s0, v32, v5
	v_lshlrev_b64 v[10:11], 4, v[13:14]
	v_add_co_ci_u32_e64 v6, s0, v33, v6, s0
	v_mad_u64_u32 v[12:13], null, s21, v45, v[4:5]
	v_mov_b32_e32 v27, v7
	v_lshlrev_b64 v[13:14], 4, v[24:25]
	v_add_co_u32 v7, s0, v32, v10
	v_add_co_ci_u32_e64 v8, s0, v33, v11, s0
	v_mov_b32_e32 v10, v12
	v_lshlrev_b64 v[24:25], 4, v[26:27]
	v_add_co_u32 v11, s0, v32, v13
	v_add_co_ci_u32_e64 v12, s0, v33, v14, s0
	v_lshlrev_b64 v[9:10], 4, v[9:10]
	v_add_co_u32 v44, s0, v32, v24
	v_add_co_ci_u32_e64 v45, s0, v33, v25, s0
	v_add_co_u32 v46, s0, v32, v9
	v_add_co_ci_u32_e64 v47, s0, v33, v10, s0
	s_clause 0x4
	global_load_dwordx4 v[32:35], v[5:6], off
	global_load_dwordx4 v[24:27], v[7:8], off
	;; [unrolled: 1-line block ×5, first 2 shown]
.LBB0_13:
	s_or_b32 exec_lo, exec_lo, s10
	s_waitcnt vmcnt(9)
	v_add_f64 v[44:45], v[16:17], v[0:1]
	s_waitcnt vmcnt(0)
	v_add_f64 v[46:47], v[18:19], -v[6:7]
	s_mov_b32 s28, 0x8eee2c13
	s_mov_b32 s20, 0x43842ef
	;; [unrolled: 1-line block ×8, first 2 shown]
	v_add_f64 v[48:49], v[16:17], v[4:5]
	v_add_f64 v[50:51], v[22:23], -v[10:11]
	s_mov_b32 s38, 0xf8bb580b
	s_mov_b32 s39, 0xbfe14ced
	;; [unrolled: 1-line block ×10, first 2 shown]
	v_add_f64 v[44:45], v[20:21], v[44:45]
	v_mul_f64 v[70:71], v[46:47], s[28:29]
	v_mul_f64 v[79:80], v[46:47], s[20:21]
	;; [unrolled: 1-line block ×5, first 2 shown]
	s_mov_b32 s31, 0x3fe14ced
	s_mov_b32 s36, s26
	;; [unrolled: 1-line block ×6, first 2 shown]
	v_add_f64 v[52:53], v[20:21], v[8:9]
	v_add_f64 v[54:55], v[30:31], -v[14:15]
	v_mul_f64 v[77:78], v[50:51], s[24:25]
	v_mul_f64 v[85:86], v[50:51], s[36:37]
	;; [unrolled: 1-line block ×5, first 2 shown]
	s_mov_b32 s18, 0x8764f0ba
	s_mov_b32 s19, 0x3feaeb8c
	;; [unrolled: 1-line block ×3, first 2 shown]
	v_add_f64 v[44:45], v[28:29], v[44:45]
	v_fma_f64 v[115:116], v[48:49], s[6:7], v[70:71]
	v_fma_f64 v[117:118], v[48:49], s[10:11], v[79:80]
	;; [unrolled: 1-line block ×4, first 2 shown]
	v_fma_f64 v[81:82], v[48:49], s[12:13], -v[81:82]
	v_fma_f64 v[83:84], v[48:49], s[16:17], -v[83:84]
	;; [unrolled: 1-line block ×4, first 2 shown]
	v_fma_f64 v[123:124], v[48:49], s[18:19], v[46:47]
	v_fma_f64 v[46:47], v[48:49], s[18:19], -v[46:47]
	s_mov_b32 s22, s28
	v_add_f64 v[60:61], v[12:13], v[28:29]
	v_add_f64 v[62:63], v[42:43], -v[26:27]
	v_mul_f64 v[87:88], v[54:55], s[36:37]
	v_mul_f64 v[89:90], v[54:55], s[22:23]
	;; [unrolled: 1-line block ×5, first 2 shown]
	v_fma_f64 v[54:55], v[52:53], s[12:13], v[77:78]
	v_fma_f64 v[125:126], v[52:53], s[16:17], v[85:86]
	;; [unrolled: 1-line block ×3, first 2 shown]
	v_add_f64 v[44:45], v[40:41], v[44:45]
	v_fma_f64 v[129:130], v[52:53], s[18:19], v[101:102]
	v_fma_f64 v[99:100], v[52:53], s[10:11], -v[99:100]
	v_fma_f64 v[101:102], v[52:53], s[18:19], -v[101:102]
	v_fma_f64 v[131:132], v[52:53], s[6:7], v[50:51]
	v_fma_f64 v[50:51], v[52:53], s[6:7], -v[50:51]
	v_fma_f64 v[77:78], v[52:53], s[12:13], -v[77:78]
	;; [unrolled: 1-line block ×3, first 2 shown]
	v_add_f64 v[85:86], v[115:116], v[0:1]
	v_add_f64 v[115:116], v[117:118], v[0:1]
	;; [unrolled: 1-line block ×11, first 2 shown]
	v_add_f64 v[66:67], v[38:39], -v[34:35]
	v_mul_f64 v[91:92], v[62:63], s[34:35]
	v_mul_f64 v[93:94], v[62:63], s[38:39]
	v_add_f64 v[44:45], v[36:37], v[44:45]
	v_mul_f64 v[107:108], v[62:63], s[26:27]
	v_mul_f64 v[109:110], v[62:63], s[22:23]
	;; [unrolled: 1-line block ×3, first 2 shown]
	v_fma_f64 v[62:63], v[60:61], s[16:17], v[87:88]
	v_fma_f64 v[123:124], v[60:61], s[6:7], v[89:90]
	;; [unrolled: 1-line block ×4, first 2 shown]
	v_add_f64 v[54:55], v[54:55], v[85:86]
	v_add_f64 v[85:86], v[125:126], v[115:116]
	v_fma_f64 v[103:104], v[60:61], s[18:19], -v[103:104]
	v_fma_f64 v[105:106], v[60:61], s[12:13], -v[105:106]
	v_fma_f64 v[137:138], v[60:61], s[10:11], v[48:49]
	v_fma_f64 v[48:49], v[60:61], s[10:11], -v[48:49]
	v_fma_f64 v[87:88], v[60:61], s[16:17], -v[87:88]
	;; [unrolled: 1-line block ×3, first 2 shown]
	v_add_f64 v[89:90], v[127:128], v[117:118]
	v_add_f64 v[115:116], v[129:130], v[119:120]
	v_add_f64 v[81:82], v[99:100], v[81:82]
	v_add_f64 v[83:84], v[101:102], v[83:84]
	v_add_f64 v[70:71], v[77:78], v[70:71]
	v_add_f64 v[52:53], v[52:53], v[79:80]
	v_add_f64 v[44:45], v[32:33], v[44:45]
	v_add_f64 v[0:1], v[50:51], v[0:1]
	v_add_f64 v[99:100], v[131:132], v[121:122]
	v_add_f64 v[68:69], v[36:37], v[32:33]
	v_mul_f64 v[95:96], v[66:67], s[30:31]
	v_mul_f64 v[97:98], v[66:67], s[24:25]
	;; [unrolled: 1-line block ×5, first 2 shown]
	v_fma_f64 v[66:67], v[64:65], s[10:11], v[91:92]
	v_fma_f64 v[77:78], v[64:65], s[18:19], v[93:94]
	v_add_f64 v[54:55], v[62:63], v[54:55]
	v_add_f64 v[62:63], v[123:124], v[85:86]
	v_fma_f64 v[79:80], v[64:65], s[16:17], v[107:108]
	v_fma_f64 v[101:102], v[64:65], s[6:7], v[109:110]
	v_fma_f64 v[107:108], v[64:65], s[16:17], -v[107:108]
	v_add_f64 v[85:86], v[133:134], v[89:90]
	v_add_f64 v[89:90], v[135:136], v[115:116]
	v_fma_f64 v[109:110], v[64:65], s[6:7], -v[109:110]
	v_add_f64 v[81:82], v[103:104], v[81:82]
	v_add_f64 v[83:84], v[105:106], v[83:84]
	v_fma_f64 v[117:118], v[64:65], s[12:13], v[46:47]
	v_add_f64 v[44:45], v[24:25], v[44:45]
	v_fma_f64 v[46:47], v[64:65], s[12:13], -v[46:47]
	v_fma_f64 v[91:92], v[64:65], s[10:11], -v[91:92]
	;; [unrolled: 1-line block ×3, first 2 shown]
	v_add_f64 v[70:71], v[87:88], v[70:71]
	v_add_f64 v[52:53], v[60:61], v[52:53]
	;; [unrolled: 1-line block ×4, first 2 shown]
	v_fma_f64 v[48:49], v[68:69], s[18:19], v[95:96]
	v_fma_f64 v[60:61], v[68:69], s[12:13], v[97:98]
	v_fma_f64 v[87:88], v[68:69], s[6:7], v[111:112]
	v_add_f64 v[54:55], v[66:67], v[54:55]
	v_add_f64 v[62:63], v[77:78], v[62:63]
	v_fma_f64 v[99:100], v[68:69], s[10:11], v[113:114]
	v_fma_f64 v[103:104], v[68:69], s[6:7], -v[111:112]
	v_fma_f64 v[105:106], v[68:69], s[10:11], -v[113:114]
	v_add_f64 v[66:67], v[79:80], v[85:86]
	v_add_f64 v[77:78], v[101:102], v[89:90]
	v_fma_f64 v[111:112], v[68:69], s[16:17], v[50:51]
	v_add_f64 v[79:80], v[107:108], v[81:82]
	v_add_f64 v[81:82], v[109:110], v[83:84]
	v_fma_f64 v[50:51], v[68:69], s[16:17], -v[50:51]
	v_add_f64 v[44:45], v[12:13], v[44:45]
	v_fma_f64 v[95:96], v[68:69], s[18:19], -v[95:96]
	v_fma_f64 v[68:69], v[68:69], s[12:13], -v[97:98]
	s_load_dwordx2 s[4:5], s[4:5], 0x0
	v_add_f64 v[70:71], v[91:92], v[70:71]
	v_add_f64 v[52:53], v[64:65], v[52:53]
	;; [unrolled: 1-line block ×4, first 2 shown]
	v_cmp_gt_u32_e64 s0, 0x58, v74
	v_lshl_add_u32 v73, v72, 3, 0
	v_add_f64 v[46:47], v[48:49], v[54:55]
	v_add_f64 v[48:49], v[60:61], v[62:63]
	;; [unrolled: 1-line block ×4, first 2 shown]
	v_lshl_add_u32 v78, v76, 3, 0
	v_add_f64 v[66:67], v[103:104], v[79:80]
	v_add_f64 v[79:80], v[105:106], v[81:82]
	v_lshl_add_u32 v77, v75, 3, 0
	v_add_f64 v[44:45], v[8:9], v[44:45]
	v_add_f64 v[60:61], v[95:96], v[70:71]
	;; [unrolled: 1-line block ×5, first 2 shown]
	v_mad_u32_u24 v0, 0x58, v74, 0
	v_mad_i32_i24 v1, 0xffffffb0, v74, v0
	v_add_nc_u32_e32 v50, 0xc00, v1
	v_add_nc_u32_e32 v51, 0x1700, v1
	;; [unrolled: 1-line block ×3, first 2 shown]
	v_add_f64 v[44:45], v[4:5], v[44:45]
	ds_write2_b64 v0, v[46:47], v[48:49] offset0:2 offset1:3
	ds_write2_b64 v0, v[54:55], v[64:65] offset0:4 offset1:5
	;; [unrolled: 1-line block ×4, first 2 shown]
	ds_write_b64 v0, v[62:63] offset:80
	ds_write2_b64 v0, v[44:45], v[81:82] offset1:1
	s_waitcnt lgkmcnt(0)
	s_barrier
	buffer_gl0_inv
	ds_read_b64 v[68:69], v78
	ds_read_b64 v[66:67], v1
	;; [unrolled: 1-line block ×3, first 2 shown]
	ds_read2_b64 v[52:55], v50 offset0:100 offset1:232
	ds_read2_b64 v[44:47], v51 offset0:12 offset1:232
	;; [unrolled: 1-line block ×3, first 2 shown]
	v_mul_i32_i24_e32 v1, 0xffffffb0, v74
                                        ; implicit-def: $vgpr70_vgpr71
	v_add_nc_u32_e32 v79, v0, v1
	s_and_saveexec_b32 s1, s0
	s_cbranch_execz .LBB0_15
; %bb.14:
	ds_read_b64 v[62:63], v79 offset:7040
	ds_read_b64 v[60:61], v73
	ds_read_b64 v[70:71], v79 offset:10912
.LBB0_15:
	s_or_b32 exec_lo, exec_lo, s1
	v_add_f64 v[80:81], v[18:19], v[2:3]
	v_add_f64 v[4:5], v[16:17], -v[4:5]
	v_add_f64 v[8:9], v[20:21], -v[8:9]
	v_add_f64 v[18:19], v[18:19], v[6:7]
	v_add_f64 v[20:21], v[40:41], -v[24:25]
	v_add_f64 v[32:33], v[36:37], -v[32:33]
	;; [unrolled: 1-line block ×3, first 2 shown]
	v_add_f64 v[24:25], v[14:15], v[30:31]
	v_add_f64 v[28:29], v[26:27], v[42:43]
	s_waitcnt lgkmcnt(0)
	s_barrier
	buffer_gl0_inv
	v_add_f64 v[80:81], v[22:23], v[80:81]
	v_mul_f64 v[36:37], v[4:5], s[38:39]
	v_mul_f64 v[40:41], v[4:5], s[28:29]
	;; [unrolled: 1-line block ×3, first 2 shown]
	v_add_f64 v[22:23], v[22:23], v[10:11]
	v_mul_f64 v[84:85], v[8:9], s[28:29]
	v_mul_f64 v[86:87], v[8:9], s[24:25]
	;; [unrolled: 1-line block ×15, first 2 shown]
	v_add_f64 v[16:17], v[30:31], v[80:81]
	v_mul_f64 v[80:81], v[4:5], s[20:21]
	v_mul_f64 v[4:5], v[4:5], s[26:27]
	v_fma_f64 v[110:111], v[18:19], s[18:19], -v[36:37]
	v_fma_f64 v[112:113], v[18:19], s[6:7], -v[40:41]
	v_fma_f64 v[40:41], v[18:19], s[6:7], v[40:41]
	v_fma_f64 v[116:117], v[18:19], s[12:13], -v[82:83]
	v_fma_f64 v[82:83], v[18:19], s[12:13], v[82:83]
	v_add_f64 v[30:31], v[38:39], v[34:35]
	v_fma_f64 v[120:121], v[22:23], s[12:13], -v[86:87]
	v_fma_f64 v[86:87], v[22:23], s[12:13], v[86:87]
	v_fma_f64 v[122:123], v[22:23], s[16:17], -v[88:89]
	v_fma_f64 v[88:89], v[22:23], s[16:17], v[88:89]
	;; [unrolled: 2-line block ×6, first 2 shown]
	v_add_f64 v[16:17], v[42:43], v[16:17]
	v_fma_f64 v[114:115], v[18:19], s[10:11], -v[80:81]
	v_fma_f64 v[118:119], v[18:19], s[16:17], -v[4:5]
	v_fma_f64 v[4:5], v[18:19], s[16:17], v[4:5]
	v_fma_f64 v[80:81], v[18:19], s[10:11], v[80:81]
	;; [unrolled: 1-line block ×3, first 2 shown]
	v_mul_f64 v[42:43], v[12:13], s[36:37]
	v_mul_f64 v[12:13], v[12:13], s[24:25]
	v_add_f64 v[40:41], v[40:41], v[2:3]
	v_add_f64 v[82:83], v[82:83], v[2:3]
	v_mul_f64 v[36:37], v[32:33], s[24:25]
	v_add_f64 v[16:17], v[38:39], v[16:17]
	v_fma_f64 v[38:39], v[22:23], s[6:7], -v[84:85]
	v_fma_f64 v[84:85], v[22:23], s[6:7], v[84:85]
	v_add_f64 v[22:23], v[110:111], v[2:3]
	v_add_f64 v[110:111], v[112:113], v[2:3]
	;; [unrolled: 1-line block ×8, first 2 shown]
	v_fma_f64 v[118:119], v[24:25], s[16:17], -v[42:43]
	v_fma_f64 v[42:43], v[24:25], s[16:17], v[42:43]
	v_fma_f64 v[132:133], v[24:25], s[12:13], -v[12:13]
	v_fma_f64 v[12:13], v[24:25], s[12:13], v[12:13]
	v_add_f64 v[82:83], v[90:91], v[82:83]
	v_mul_f64 v[18:19], v[32:33], s[22:23]
	v_add_f64 v[16:17], v[34:35], v[16:17]
	v_fma_f64 v[34:35], v[24:25], s[10:11], -v[92:93]
	v_fma_f64 v[92:93], v[24:25], s[10:11], v[92:93]
	v_add_f64 v[22:23], v[38:39], v[22:23]
	v_add_f64 v[24:25], v[120:121], v[110:111]
	;; [unrolled: 1-line block ×9, first 2 shown]
	v_fma_f64 v[80:81], v[28:29], s[12:13], v[98:99]
	v_fma_f64 v[84:85], v[28:29], s[10:11], -v[100:101]
	v_fma_f64 v[88:89], v[28:29], s[10:11], v[100:101]
	v_fma_f64 v[100:101], v[28:29], s[18:19], v[102:103]
	v_fma_f64 v[110:111], v[28:29], s[6:7], -v[20:21]
	v_fma_f64 v[20:21], v[28:29], s[6:7], v[20:21]
	v_add_nc_u32_e32 v5, 0xc00, v79
	v_add_f64 v[16:17], v[26:27], v[16:17]
	v_mul_f64 v[26:27], v[32:33], s[20:21]
	v_fma_f64 v[32:33], v[28:29], s[12:13], -v[98:99]
	v_fma_f64 v[98:99], v[28:29], s[18:19], -v[102:103]
	v_add_f64 v[22:23], v[34:35], v[22:23]
	v_add_f64 v[24:25], v[118:119], v[24:25]
	;; [unrolled: 1-line block ×3, first 2 shown]
	v_fma_f64 v[102:103], v[28:29], s[16:17], -v[104:105]
	v_fma_f64 v[104:105], v[28:29], s[16:17], v[104:105]
	v_add_f64 v[28:29], v[42:43], v[38:39]
	v_add_f64 v[38:39], v[130:131], v[86:87]
	;; [unrolled: 1-line block ×7, first 2 shown]
	v_fma_f64 v[82:83], v[30:31], s[18:19], -v[108:109]
	v_fma_f64 v[86:87], v[30:31], s[18:19], v[108:109]
	v_fma_f64 v[90:91], v[30:31], s[12:13], -v[36:37]
	v_fma_f64 v[36:37], v[30:31], s[12:13], v[36:37]
	v_fma_f64 v[92:93], v[30:31], s[6:7], -v[18:19]
	v_fma_f64 v[18:19], v[30:31], s[6:7], v[18:19]
	v_add_f64 v[12:13], v[14:15], v[16:17]
	v_fma_f64 v[14:15], v[30:31], s[16:17], -v[106:107]
	v_fma_f64 v[16:17], v[30:31], s[16:17], v[106:107]
	v_fma_f64 v[94:95], v[30:31], s[10:11], -v[26:27]
	v_fma_f64 v[26:27], v[30:31], s[10:11], v[26:27]
	v_add_f64 v[22:23], v[32:33], v[22:23]
	v_add_f64 v[24:25], v[84:85], v[24:25]
	;; [unrolled: 1-line block ×22, first 2 shown]
	v_add_nc_u32_e32 v6, 0x1700, v79
	v_add_nc_u32_e32 v10, 0x2000, v79
	ds_write2_b64 v0, v[22:23], v[24:25] offset0:2 offset1:3
	ds_write2_b64 v0, v[28:29], v[30:31] offset0:4 offset1:5
	;; [unrolled: 1-line block ×4, first 2 shown]
	ds_write_b64 v0, v[20:21] offset:80
	ds_write2_b64 v0, v[1:2], v[14:15] offset1:1
	s_waitcnt lgkmcnt(0)
	s_barrier
	buffer_gl0_inv
	ds_read2_b64 v[0:3], v5 offset0:100 offset1:232
	ds_read2_b64 v[4:7], v6 offset0:12 offset1:232
	ds_read_b64 v[14:15], v78
	ds_read2_b64 v[8:11], v10 offset0:76 offset1:208
	ds_read_b64 v[18:19], v79
	ds_read_b64 v[16:17], v77
                                        ; implicit-def: $vgpr22_vgpr23
	s_and_saveexec_b32 s1, s0
	s_cbranch_execz .LBB0_17
; %bb.16:
	ds_read_b64 v[20:21], v79 offset:7040
	ds_read_b64 v[12:13], v73
	ds_read_b64 v[22:23], v79 offset:10912
.LBB0_17:
	s_or_b32 exec_lo, exec_lo, s1
	v_and_b32_e32 v81, 0xff, v74
	v_mov_b32_e32 v26, 0xba2f
	v_mov_b32_e32 v28, 5
	s_mov_b32 s10, 0xe8584caa
	s_mov_b32 s11, 0xbfebb67a
	v_mul_lo_u16 v24, 0x75, v81
	v_mul_u32_u24_sdwa v27, v76, v26 dst_sel:DWORD dst_unused:UNUSED_PAD src0_sel:WORD_0 src1_sel:DWORD
	s_mov_b32 s7, 0x3febb67a
	s_mov_b32 s6, s10
	v_lshrrev_b16 v24, 8, v24
	v_lshrrev_b32_e32 v80, 19, v27
	v_sub_nc_u16 v25, v74, v24
	v_lshrrev_b16 v25, 1, v25
	v_and_b32_e32 v25, 0x7f, v25
	v_add_nc_u16 v24, v25, v24
	v_mul_u32_u24_sdwa v25, v75, v26 dst_sel:DWORD dst_unused:UNUSED_PAD src0_sel:WORD_0 src1_sel:DWORD
	v_mul_u32_u24_sdwa v26, v72, v26 dst_sel:DWORD dst_unused:UNUSED_PAD src0_sel:WORD_0 src1_sel:DWORD
	v_lshrrev_b16 v118, 3, v24
	v_mul_lo_u16 v24, v80, 11
	v_lshrrev_b32_e32 v119, 19, v25
	v_lshrrev_b32_e32 v120, 19, v26
	v_mul_lo_u16 v25, v118, 11
	v_sub_nc_u16 v121, v76, v24
	v_mul_lo_u16 v24, v119, 11
	v_mul_lo_u16 v26, v120, 11
	v_sub_nc_u16 v122, v74, v25
	v_lshlrev_b32_sdwa v29, v28, v121 dst_sel:DWORD dst_unused:UNUSED_PAD src0_sel:DWORD src1_sel:WORD_0
	v_sub_nc_u16 v123, v75, v24
	v_sub_nc_u16 v72, v72, v26
	s_clause 0x1
	global_load_dwordx4 v[24:27], v29, s[8:9]
	global_load_dwordx4 v[36:39], v29, s[8:9] offset:16
	v_lshlrev_b32_sdwa v30, v28, v122 dst_sel:DWORD dst_unused:UNUSED_PAD src0_sel:DWORD src1_sel:BYTE_0
	v_lshlrev_b32_sdwa v29, v28, v123 dst_sel:DWORD dst_unused:UNUSED_PAD src0_sel:DWORD src1_sel:WORD_0
	v_lshlrev_b32_sdwa v28, v28, v72 dst_sel:DWORD dst_unused:UNUSED_PAD src0_sel:DWORD src1_sel:WORD_0
	s_clause 0x5
	global_load_dwordx4 v[82:85], v30, s[8:9]
	global_load_dwordx4 v[86:89], v30, s[8:9] offset:16
	global_load_dwordx4 v[90:93], v29, s[8:9]
	global_load_dwordx4 v[94:97], v29, s[8:9] offset:16
	;; [unrolled: 2-line block ×3, first 2 shown]
	s_waitcnt vmcnt(0) lgkmcnt(0)
	s_barrier
	buffer_gl0_inv
	v_mul_f64 v[28:29], v[2:3], v[26:27]
	v_mul_f64 v[30:31], v[8:9], v[38:39]
	;; [unrolled: 1-line block ×13, first 2 shown]
	v_fma_f64 v[26:27], v[54:55], v[24:25], v[28:29]
	v_fma_f64 v[28:29], v[48:49], v[36:37], v[30:31]
	v_mul_f64 v[48:49], v[52:53], v[84:85]
	v_mul_f64 v[54:55], v[46:47], v[88:89]
	v_fma_f64 v[40:41], v[52:53], v[82:83], v[32:33]
	v_fma_f64 v[42:43], v[46:47], v[86:87], v[34:35]
	v_mul_f64 v[46:47], v[70:71], v[104:105]
	v_fma_f64 v[32:33], v[44:45], v[90:91], v[106:107]
	v_fma_f64 v[38:39], v[50:51], v[94:95], v[108:109]
	;; [unrolled: 1-line block ×4, first 2 shown]
	v_fma_f64 v[2:3], v[2:3], v[24:25], -v[114:115]
	v_fma_f64 v[8:9], v[8:9], v[36:37], -v[116:117]
	v_fma_f64 v[44:45], v[4:5], v[90:91], -v[92:93]
	v_fma_f64 v[36:37], v[20:21], v[98:99], -v[100:101]
	v_mov_b32_e32 v50, 3
	v_add_f64 v[51:52], v[68:69], v[26:27]
	v_add_f64 v[24:25], v[26:27], v[28:29]
	v_fma_f64 v[0:1], v[0:1], v[82:83], -v[48:49]
	v_fma_f64 v[4:5], v[6:7], v[86:87], -v[54:55]
	;; [unrolled: 1-line block ×3, first 2 shown]
	v_add_f64 v[48:49], v[40:41], v[42:43]
	v_fma_f64 v[22:23], v[22:23], v[102:103], -v[46:47]
	v_add_f64 v[62:63], v[64:65], v[32:33]
	v_add_f64 v[10:11], v[32:33], v[38:39]
	;; [unrolled: 1-line block ×3, first 2 shown]
	v_add_f64 v[53:54], v[2:3], -v[8:9]
	v_add_f64 v[51:52], v[51:52], v[28:29]
	v_fma_f64 v[24:25], v[24:25], -0.5, v[68:69]
	v_add_f64 v[68:69], v[66:67], v[40:41]
	v_add_f64 v[70:71], v[0:1], -v[4:5]
	v_fma_f64 v[48:49], v[48:49], -0.5, v[66:67]
	v_add_f64 v[20:21], v[36:37], -v[22:23]
	v_add_f64 v[66:67], v[44:45], -v[6:7]
	v_fma_f64 v[64:65], v[10:11], -0.5, v[64:65]
	v_add_f64 v[62:63], v[62:63], v[38:39]
	v_fma_f64 v[10:11], v[46:47], -0.5, v[60:61]
	v_mov_b32_e32 v46, 0x108
	v_mul_u32_u24_e32 v47, 0x108, v80
	v_mul_u32_u24_sdwa v55, v118, v46 dst_sel:DWORD dst_unused:UNUSED_PAD src0_sel:WORD_0 src1_sel:DWORD
	v_mul_lo_u16 v46, v120, 33
	v_fma_f64 v[82:83], v[53:54], s[10:11], v[24:25]
	v_add_f64 v[68:69], v[68:69], v[42:43]
	v_fma_f64 v[53:54], v[53:54], s[6:7], v[24:25]
	v_fma_f64 v[84:85], v[70:71], s[10:11], v[48:49]
	;; [unrolled: 1-line block ×3, first 2 shown]
	v_mul_u32_u24_e32 v48, 0x108, v119
	v_fma_f64 v[86:87], v[66:67], s[10:11], v[64:65]
	v_fma_f64 v[64:65], v[66:67], s[6:7], v[64:65]
	;; [unrolled: 1-line block ×3, first 2 shown]
	v_lshlrev_b32_sdwa v49, v50, v121 dst_sel:DWORD dst_unused:UNUSED_PAD src0_sel:DWORD src1_sel:WORD_0
	v_lshlrev_b32_sdwa v66, v50, v122 dst_sel:DWORD dst_unused:UNUSED_PAD src0_sel:DWORD src1_sel:BYTE_0
	v_lshlrev_b32_sdwa v67, v50, v123 dst_sel:DWORD dst_unused:UNUSED_PAD src0_sel:DWORD src1_sel:WORD_0
	v_add3_u32 v47, 0, v47, v49
	v_add3_u32 v49, 0, v55, v66
	;; [unrolled: 1-line block ×3, first 2 shown]
	ds_write2_b64 v49, v[68:69], v[84:85] offset1:11
	ds_write_b64 v49, v[70:71] offset:176
	ds_write2_b64 v47, v[51:52], v[82:83] offset1:11
	ds_write_b64 v47, v[53:54] offset:176
	ds_write2_b64 v48, v[62:63], v[86:87] offset1:11
	ds_write_b64 v48, v[64:65] offset:176
	s_and_saveexec_b32 s1, s0
	s_cbranch_execz .LBB0_19
; %bb.18:
	v_mul_f64 v[20:21], v[20:21], s[6:7]
	v_add_f64 v[51:52], v[60:61], v[30:31]
	v_add_f64 v[10:11], v[10:11], -v[20:21]
	v_add_f64 v[20:21], v[51:52], v[34:35]
	v_lshlrev_b32_sdwa v51, v50, v72 dst_sel:DWORD dst_unused:UNUSED_PAD src0_sel:DWORD src1_sel:WORD_0
	v_lshlrev_b32_sdwa v50, v50, v46 dst_sel:DWORD dst_unused:UNUSED_PAD src0_sel:DWORD src1_sel:WORD_0
	v_add3_u32 v50, 0, v51, v50
	ds_write2_b64 v50, v[20:21], v[10:11] offset1:11
	ds_write_b64 v50, v[24:25] offset:176
.LBB0_19:
	s_or_b32 exec_lo, exec_lo, s1
	v_add_f64 v[10:11], v[0:1], v[4:5]
	v_add_f64 v[20:21], v[2:3], v[8:9]
	v_add_f64 v[50:51], v[44:45], v[6:7]
	v_add_f64 v[52:53], v[36:37], v[22:23]
	v_add_f64 v[54:55], v[18:19], v[0:1]
	v_add_f64 v[40:41], v[40:41], -v[42:43]
	v_add_f64 v[42:43], v[14:15], v[2:3]
	v_add_f64 v[44:45], v[16:17], v[44:45]
	v_add_f64 v[60:61], v[32:33], -v[38:39]
	v_add_nc_u32_e32 v38, 0x1000, v79
	v_add_nc_u32_e32 v39, 0x1800, v79
	;; [unrolled: 1-line block ×3, first 2 shown]
	s_waitcnt lgkmcnt(0)
	s_barrier
	buffer_gl0_inv
	v_fma_f64 v[10:11], v[10:11], -0.5, v[18:19]
	v_add_f64 v[18:19], v[26:27], -v[28:29]
	v_fma_f64 v[26:27], v[20:21], -0.5, v[14:15]
	v_fma_f64 v[50:51], v[50:51], -0.5, v[16:17]
	v_add_f64 v[16:17], v[30:31], -v[34:35]
	v_fma_f64 v[14:15], v[52:53], -0.5, v[12:13]
	ds_read_b64 v[34:35], v78
	ds_read_b64 v[28:29], v79 offset:10560
	ds_read_b64 v[20:21], v79
	ds_read_b64 v[32:33], v77
	;; [unrolled: 1-line block ×3, first 2 shown]
	v_add_f64 v[52:53], v[54:55], v[4:5]
	ds_read2_b64 v[0:3], v38 offset0:16 offset1:148
	v_add_f64 v[42:43], v[42:43], v[8:9]
	v_add_f64 v[44:45], v[44:45], v[6:7]
	v_fma_f64 v[54:55], v[40:41], s[6:7], v[10:11]
	v_fma_f64 v[40:41], v[40:41], s[10:11], v[10:11]
	;; [unrolled: 1-line block ×4, first 2 shown]
	ds_read2_b64 v[4:7], v39 offset0:24 offset1:156
	ds_read2_b64 v[8:11], v80 offset0:32 offset1:164
	v_fma_f64 v[26:27], v[16:17], s[10:11], v[14:15]
	v_fma_f64 v[64:65], v[60:61], s[6:7], v[50:51]
	;; [unrolled: 1-line block ×3, first 2 shown]
	s_waitcnt lgkmcnt(0)
	s_barrier
	buffer_gl0_inv
	ds_write2_b64 v49, v[52:53], v[54:55] offset1:11
	ds_write_b64 v49, v[40:41] offset:176
	ds_write2_b64 v47, v[42:43], v[62:63] offset1:11
	ds_write_b64 v47, v[18:19] offset:176
	;; [unrolled: 2-line block ×3, first 2 shown]
	s_and_saveexec_b32 s1, s0
	s_cbranch_execz .LBB0_21
; %bb.20:
	v_add_f64 v[12:13], v[12:13], v[36:37]
	v_mul_f64 v[16:17], v[16:17], s[6:7]
	v_add_f64 v[12:13], v[12:13], v[22:23]
	v_add_f64 v[14:15], v[16:17], v[14:15]
	v_mov_b32_e32 v16, 3
	v_lshlrev_b32_sdwa v17, v16, v72 dst_sel:DWORD dst_unused:UNUSED_PAD src0_sel:DWORD src1_sel:WORD_0
	v_lshlrev_b32_sdwa v16, v16, v46 dst_sel:DWORD dst_unused:UNUSED_PAD src0_sel:DWORD src1_sel:WORD_0
	v_add3_u32 v16, 0, v17, v16
	ds_write2_b64 v16, v[12:13], v[14:15] offset1:11
	ds_write_b64 v16, v[26:27] offset:176
.LBB0_21:
	s_or_b32 exec_lo, exec_lo, s1
	v_mul_lo_u16 v12, 0xf9, v81
	v_mov_b32_e32 v13, 10
	s_waitcnt lgkmcnt(0)
	s_barrier
	buffer_gl0_inv
	v_lshrrev_b16 v36, 13, v12
	s_mov_b32 s6, 0xf8bb580b
	s_mov_b32 s10, 0x8eee2c13
	;; [unrolled: 1-line block ×4, first 2 shown]
	v_mul_lo_u16 v12, v36, 33
	s_mov_b32 s11, 0xbfed1bb4
	s_mov_b32 s13, 0xbfefac9e
	s_mov_b32 s22, 0xbb3a28a1
	s_mov_b32 s23, 0xbfe82f19
	v_sub_nc_u16 v37, v74, v12
	s_mov_b32 s20, 0x8764f0ba
	s_mov_b32 s18, 0xd9c712b6
	;; [unrolled: 1-line block ×4, first 2 shown]
	v_mul_u32_u24_sdwa v12, v37, v13 dst_sel:DWORD dst_unused:UNUSED_PAD src0_sel:BYTE_0 src1_sel:DWORD
	s_mov_b32 s19, 0x3fda9628
	s_mov_b32 s17, 0xbfc2375f
	;; [unrolled: 1-line block ×4, first 2 shown]
	v_lshlrev_b32_e32 v22, 4, v12
	s_mov_b32 s31, 0x3fd207e7
	s_mov_b32 s25, 0x3fefac9e
	;; [unrolled: 1-line block ×4, first 2 shown]
	s_clause 0x9
	global_load_dwordx4 v[16:19], v22, s[8:9] offset:352
	global_load_dwordx4 v[12:15], v22, s[8:9] offset:368
	;; [unrolled: 1-line block ×10, first 2 shown]
	ds_read_b64 v[52:53], v78
	ds_read_b64 v[54:55], v77
	ds_read2_b64 v[93:96], v38 offset0:16 offset1:148
	ds_read2_b64 v[97:100], v39 offset0:24 offset1:156
	;; [unrolled: 1-line block ×3, first 2 shown]
	ds_read_b64 v[38:39], v73
	ds_read_b64 v[70:71], v79 offset:10560
	s_mov_b32 s24, s12
	s_mov_b32 s34, s6
	s_mov_b32 s37, 0xbfe4f49e
	s_mov_b32 s39, 0xbfeeb42a
	s_mov_b32 s29, 0x3fed1bb4
	s_mov_b32 s28, s10
	v_cmp_gt_u32_e64 s0, 0x63, v74
	s_waitcnt vmcnt(9) lgkmcnt(6)
	v_mul_f64 v[22:23], v[52:53], v[18:19]
	s_waitcnt vmcnt(8) lgkmcnt(5)
	v_mul_f64 v[68:69], v[54:55], v[14:15]
	s_waitcnt vmcnt(7)
	v_mul_f64 v[105:106], v[28:29], v[42:43]
	v_mul_f64 v[107:108], v[32:33], v[14:15]
	s_waitcnt vmcnt(6) lgkmcnt(1)
	v_mul_f64 v[109:110], v[38:39], v[46:47]
	s_waitcnt vmcnt(4)
	v_mul_f64 v[113:114], v[93:94], v[50:51]
	v_mul_f64 v[115:116], v[0:1], v[50:51]
	;; [unrolled: 1-line block ×4, first 2 shown]
	s_waitcnt vmcnt(3)
	v_mul_f64 v[117:118], v[95:96], v[66:67]
	s_waitcnt vmcnt(2)
	v_mul_f64 v[119:120], v[8:9], v[83:84]
	;; [unrolled: 2-line block ×3, first 2 shown]
	v_mul_f64 v[87:88], v[4:5], v[87:88]
	v_mul_f64 v[62:63], v[103:104], v[62:63]
	;; [unrolled: 1-line block ×3, first 2 shown]
	s_waitcnt vmcnt(0)
	v_mul_f64 v[125:126], v[6:7], v[91:92]
	v_mul_f64 v[91:92], v[99:100], v[91:92]
	v_fma_f64 v[22:23], v[34:35], v[16:17], v[22:23]
	v_mul_f64 v[34:35], v[34:35], v[18:19]
	ds_read_b64 v[18:19], v79
	v_fma_f64 v[50:51], v[32:33], v[12:13], v[68:69]
	v_mul_f64 v[68:69], v[2:3], v[66:67]
	s_waitcnt lgkmcnt(1)
	v_mul_f64 v[123:124], v[70:71], v[42:43]
	v_fma_f64 v[14:15], v[70:71], v[40:41], -v[105:106]
	v_fma_f64 v[70:71], v[54:55], v[12:13], -v[107:108]
	v_fma_f64 v[54:55], v[0:1], v[48:49], v[113:114]
	v_fma_f64 v[12:13], v[103:104], v[60:61], -v[111:112]
	v_fma_f64 v[66:67], v[38:39], v[44:45], -v[46:47]
	v_fma_f64 v[46:47], v[2:3], v[64:65], v[117:118]
	s_waitcnt lgkmcnt(0)
	s_barrier
	buffer_gl0_inv
	v_fma_f64 v[38:39], v[99:100], v[89:90], -v[125:126]
	v_add_f64 v[32:33], v[20:21], v[22:23]
	v_fma_f64 v[72:73], v[52:53], v[16:17], -v[34:35]
	v_fma_f64 v[52:53], v[30:31], v[44:45], v[109:110]
	v_fma_f64 v[44:45], v[93:94], v[48:49], -v[115:116]
	v_fma_f64 v[42:43], v[95:96], v[64:65], -v[68:69]
	v_fma_f64 v[68:69], v[28:29], v[40:41], v[123:124]
	v_fma_f64 v[16:17], v[101:102], v[81:82], -v[119:120]
	v_fma_f64 v[48:49], v[4:5], v[85:86], v[121:122]
	v_fma_f64 v[64:65], v[10:11], v[60:61], v[62:63]
	;; [unrolled: 1-line block ×3, first 2 shown]
	v_fma_f64 v[40:41], v[97:98], v[85:86], -v[87:88]
	v_add_f64 v[4:5], v[70:71], -v[12:13]
	v_fma_f64 v[60:61], v[6:7], v[89:90], v[91:92]
	v_add_f64 v[0:1], v[32:33], v[50:51]
	v_add_f64 v[2:3], v[72:73], -v[14:15]
	v_add_f64 v[10:11], v[44:45], -v[38:39]
	v_add_f64 v[8:9], v[22:23], v[68:69]
	v_add_f64 v[6:7], v[66:67], -v[16:17]
	v_add_f64 v[34:35], v[46:47], v[48:49]
	v_add_f64 v[28:29], v[50:51], v[64:65]
	v_add_f64 v[30:31], v[52:53], v[62:63]
	v_add_f64 v[81:82], v[42:43], -v[40:41]
	v_mul_f64 v[91:92], v[4:5], s[10:11]
	v_mul_f64 v[93:94], v[4:5], s[22:23]
	;; [unrolled: 1-line block ×5, first 2 shown]
	v_add_f64 v[32:33], v[54:55], v[60:61]
	v_add_f64 v[0:1], v[0:1], v[52:53]
	v_mul_f64 v[83:84], v[2:3], s[6:7]
	v_mul_f64 v[85:86], v[2:3], s[10:11]
	;; [unrolled: 1-line block ×10, first 2 shown]
	v_fma_f64 v[129:130], v[28:29], s[18:19], v[91:92]
	v_fma_f64 v[91:92], v[28:29], s[18:19], -v[91:92]
	v_fma_f64 v[131:132], v[28:29], s[36:37], v[93:94]
	v_fma_f64 v[93:94], v[28:29], s[36:37], -v[93:94]
	;; [unrolled: 2-line block ×5, first 2 shown]
	v_mul_f64 v[107:108], v[10:11], s[22:23]
	v_add_f64 v[0:1], v[0:1], v[54:55]
	v_fma_f64 v[119:120], v[8:9], s[20:21], v[83:84]
	v_fma_f64 v[121:122], v[8:9], s[18:19], v[85:86]
	v_fma_f64 v[85:86], v[8:9], s[18:19], -v[85:86]
	v_fma_f64 v[123:124], v[8:9], s[16:17], v[87:88]
	v_fma_f64 v[125:126], v[8:9], s[36:37], v[89:90]
	v_fma_f64 v[89:90], v[8:9], s[36:37], -v[89:90]
	v_fma_f64 v[127:128], v[8:9], s[38:39], v[2:3]
	v_fma_f64 v[2:3], v[8:9], s[38:39], -v[2:3]
	v_fma_f64 v[87:88], v[8:9], s[16:17], -v[87:88]
	;; [unrolled: 1-line block ×3, first 2 shown]
	v_mul_f64 v[109:110], v[10:11], s[24:25]
	v_mul_f64 v[111:112], v[10:11], s[6:7]
	;; [unrolled: 1-line block ×4, first 2 shown]
	v_fma_f64 v[139:140], v[30:31], s[38:39], v[101:102]
	v_fma_f64 v[101:102], v[30:31], s[38:39], -v[101:102]
	v_fma_f64 v[141:142], v[30:31], s[18:19], v[103:104]
	v_fma_f64 v[103:104], v[30:31], s[18:19], -v[103:104]
	;; [unrolled: 2-line block ×3, first 2 shown]
	v_fma_f64 v[145:146], v[30:31], s[36:37], v[6:7]
	v_add_f64 v[0:1], v[0:1], v[46:47]
	v_add_f64 v[28:29], v[20:21], v[119:120]
	;; [unrolled: 1-line block ×11, first 2 shown]
	v_fma_f64 v[127:128], v[30:31], s[16:17], v[99:100]
	v_fma_f64 v[99:100], v[30:31], s[16:17], -v[99:100]
	v_fma_f64 v[6:7], v[30:31], s[36:37], -v[6:7]
	v_mul_f64 v[115:116], v[81:82], s[26:27]
	v_mul_f64 v[117:118], v[81:82], s[34:35]
	;; [unrolled: 1-line block ×5, first 2 shown]
	v_add_f64 v[0:1], v[0:1], v[48:49]
	v_add_f64 v[28:29], v[129:130], v[28:29]
	;; [unrolled: 1-line block ×11, first 2 shown]
	v_fma_f64 v[87:88], v[32:33], s[36:37], v[107:108]
	v_fma_f64 v[91:92], v[32:33], s[36:37], -v[107:108]
	v_fma_f64 v[95:96], v[32:33], s[16:17], v[109:110]
	v_fma_f64 v[107:108], v[32:33], s[16:17], -v[109:110]
	;; [unrolled: 2-line block ×5, first 2 shown]
	v_add_f64 v[0:1], v[0:1], v[60:61]
	v_add_f64 v[28:29], v[127:128], v[28:29]
	;; [unrolled: 1-line block ×11, first 2 shown]
	v_fma_f64 v[8:9], v[34:35], s[38:39], v[115:116]
	v_fma_f64 v[99:100], v[34:35], s[38:39], -v[115:116]
	v_fma_f64 v[101:102], v[34:35], s[20:21], v[117:118]
	v_fma_f64 v[103:104], v[34:35], s[20:21], -v[117:118]
	;; [unrolled: 2-line block ×5, first 2 shown]
	v_add_f64 v[0:1], v[0:1], v[62:63]
	v_add_f64 v[28:29], v[87:88], v[28:29]
	;; [unrolled: 1-line block ×11, first 2 shown]
	v_mov_b32_e32 v93, 0xb58
	v_mov_b32_e32 v94, 3
	v_add_f64 v[0:1], v[0:1], v[64:65]
	v_add_f64 v[8:9], v[8:9], v[28:29]
	;; [unrolled: 1-line block ×11, first 2 shown]
	v_mul_u32_u24_sdwa v4, v36, v93 dst_sel:DWORD dst_unused:UNUSED_PAD src0_sel:WORD_0 src1_sel:DWORD
	v_lshlrev_b32_sdwa v5, v94, v37 dst_sel:DWORD dst_unused:UNUSED_PAD src0_sel:DWORD src1_sel:BYTE_0
	v_add_nc_u32_e32 v21, 0x800, v79
	v_add_nc_u32_e32 v81, 0x1400, v79
	v_add3_u32 v20, 0, v4, v5
	v_add_nc_u32_e32 v82, 0x800, v20
	v_add_f64 v[0:1], v[0:1], v[68:69]
	ds_write2_b64 v20, v[10:11], v[91:92] offset0:66 offset1:99
	ds_write2_b64 v20, v[85:86], v[89:90] offset0:132 offset1:165
	;; [unrolled: 1-line block ×4, first 2 shown]
	ds_write_b64 v20, v[32:33] offset:2640
	ds_write2_b64 v20, v[0:1], v[8:9] offset1:33
	s_waitcnt lgkmcnt(0)
	s_barrier
	buffer_gl0_inv
	ds_read2_b64 v[8:11], v21 offset0:107 offset1:239
	ds_read2_b64 v[0:3], v81 offset0:86 offset1:218
	;; [unrolled: 1-line block ×3, first 2 shown]
	ds_read_b64 v[36:37], v79
	ds_read_b64 v[34:35], v78
	s_and_saveexec_b32 s1, s0
	s_cbranch_execz .LBB0_23
; %bb.22:
	ds_read_b64 v[28:29], v77
	ds_read_b64 v[30:31], v79 offset:5016
	ds_read_b64 v[32:33], v79 offset:7920
	;; [unrolled: 1-line block ×3, first 2 shown]
.LBB0_23:
	s_or_b32 exec_lo, exec_lo, s1
	v_add_f64 v[83:84], v[18:19], v[72:73]
	v_add_f64 v[72:73], v[72:73], v[14:15]
	;; [unrolled: 1-line block ×3, first 2 shown]
	v_add_f64 v[22:23], v[22:23], -v[68:69]
	v_add_f64 v[50:51], v[50:51], -v[64:65]
	;; [unrolled: 1-line block ×4, first 2 shown]
	v_add_f64 v[68:69], v[44:45], v[38:39]
	s_mov_b32 s41, 0x3fe82f19
	s_mov_b32 s40, s22
	v_add_f64 v[54:55], v[54:55], -v[60:61]
	v_add_f64 v[60:61], v[42:43], v[40:41]
	s_waitcnt lgkmcnt(0)
	s_barrier
	buffer_gl0_inv
	v_add_f64 v[83:84], v[83:84], v[70:71]
	v_add_f64 v[70:71], v[70:71], v[12:13]
	v_mul_f64 v[48:49], v[72:73], s[20:21]
	v_mul_f64 v[62:63], v[72:73], s[18:19]
	;; [unrolled: 1-line block ×13, first 2 shown]
	v_add_f64 v[66:67], v[83:84], v[66:67]
	v_mul_f64 v[83:84], v[72:73], s[36:37]
	v_mul_f64 v[72:73], v[72:73], s[38:39]
	;; [unrolled: 1-line block ×7, first 2 shown]
	v_fma_f64 v[113:114], v[22:23], s[34:35], v[48:49]
	v_fma_f64 v[115:116], v[22:23], s[28:29], v[62:63]
	;; [unrolled: 1-line block ×9, first 2 shown]
	v_add_f64 v[44:45], v[66:67], v[44:45]
	v_fma_f64 v[119:120], v[22:23], s[40:41], v[83:84]
	v_fma_f64 v[83:84], v[22:23], s[22:23], v[83:84]
	;; [unrolled: 1-line block ×5, first 2 shown]
	v_mul_f64 v[66:67], v[85:86], s[38:39]
	v_mul_f64 v[85:86], v[85:86], s[36:37]
	v_fma_f64 v[48:49], v[50:51], s[28:29], v[87:88]
	v_fma_f64 v[87:88], v[50:51], s[10:11], v[87:88]
	;; [unrolled: 1-line block ×10, first 2 shown]
	v_add_f64 v[70:71], v[18:19], v[113:114]
	v_add_f64 v[113:114], v[18:19], v[115:116]
	;; [unrolled: 1-line block ×11, first 2 shown]
	v_fma_f64 v[121:122], v[52:53], s[26:27], v[66:67]
	v_fma_f64 v[66:67], v[52:53], s[30:31], v[66:67]
	;; [unrolled: 1-line block ×3, first 2 shown]
	v_mul_f64 v[44:45], v[60:61], s[36:37]
	v_add_f64 v[48:49], v[48:49], v[70:71]
	v_add_f64 v[70:71], v[123:124], v[113:114]
	v_add_f64 v[62:63], v[89:90], v[62:63]
	v_fma_f64 v[113:114], v[54:55], s[10:11], v[68:69]
	v_add_f64 v[22:23], v[42:43], v[40:41]
	v_fma_f64 v[42:43], v[52:53], s[24:25], v[95:96]
	v_fma_f64 v[95:96], v[52:53], s[12:13], v[95:96]
	;; [unrolled: 1-line block ×3, first 2 shown]
	v_add_f64 v[85:86], v[125:126], v[115:116]
	v_add_f64 v[89:90], v[127:128], v[117:118]
	;; [unrolled: 1-line block ×7, first 2 shown]
	v_mul_f64 v[40:41], v[60:61], s[18:19]
	v_fma_f64 v[72:73], v[54:55], s[22:23], v[101:102]
	v_fma_f64 v[87:88], v[54:55], s[12:13], v[103:104]
	;; [unrolled: 1-line block ×4, first 2 shown]
	v_add_f64 v[62:63], v[66:67], v[62:63]
	v_add_f64 v[22:23], v[22:23], v[38:39]
	v_mul_f64 v[38:39], v[60:61], s[16:17]
	v_fma_f64 v[60:61], v[54:55], s[40:41], v[101:102]
	v_fma_f64 v[101:102], v[54:55], s[34:35], v[105:106]
	v_add_f64 v[42:43], v[42:43], v[48:49]
	v_add_f64 v[48:49], v[121:122], v[70:71]
	;; [unrolled: 1-line block ×3, first 2 shown]
	v_fma_f64 v[105:106], v[54:55], s[30:31], v[107:108]
	v_fma_f64 v[107:108], v[54:55], s[26:27], v[107:108]
	v_fma_f64 v[54:55], v[54:55], s[28:29], v[68:69]
	v_add_f64 v[68:69], v[133:134], v[89:90]
	v_add_f64 v[70:71], v[99:100], v[83:84]
	;; [unrolled: 1-line block ×6, first 2 shown]
	v_fma_f64 v[64:65], v[46:47], s[26:27], v[109:110]
	v_fma_f64 v[85:86], v[46:47], s[6:7], v[111:112]
	;; [unrolled: 1-line block ×6, first 2 shown]
	v_add_f64 v[16:17], v[22:23], v[16:17]
	v_fma_f64 v[22:23], v[46:47], s[30:31], v[109:110]
	v_fma_f64 v[97:98], v[46:47], s[28:29], v[40:41]
	v_fma_f64 v[99:100], v[46:47], s[24:25], v[38:39]
	v_fma_f64 v[38:39], v[46:47], s[12:13], v[38:39]
	v_add_f64 v[40:41], v[60:61], v[42:43]
	v_add_f64 v[42:43], v[87:88], v[48:49]
	v_add_f64 v[46:47], v[91:92], v[62:63]
	v_add_f64 v[48:49], v[101:102], v[66:67]
	v_add_f64 v[60:61], v[105:106], v[68:69]
	v_add_f64 v[62:63], v[107:108], v[70:71]
	v_add_f64 v[66:67], v[113:114], v[83:84]
	v_add_f64 v[50:51], v[54:55], v[50:51]
	v_add_f64 v[52:53], v[103:104], v[52:53]
	v_add_f64 v[18:19], v[72:73], v[18:19]
	v_add_f64 v[12:13], v[16:17], v[12:13]
	v_add_f64 v[16:17], v[22:23], v[40:41]
	v_add_f64 v[22:23], v[85:86], v[42:43]
	v_add_f64 v[40:41], v[89:90], v[46:47]
	v_add_f64 v[46:47], v[93:94], v[48:49]
	v_add_f64 v[48:49], v[95:96], v[60:61]
	v_add_f64 v[54:55], v[97:98], v[62:63]
	v_add_f64 v[60:61], v[99:100], v[66:67]
	v_add_f64 v[50:51], v[38:39], v[50:51]
	v_add_f64 v[38:39], v[44:45], v[52:53]
	v_add_f64 v[42:43], v[64:65], v[18:19]
	v_add_f64 v[12:13], v[12:13], v[14:15]
	v_add_nc_u32_e32 v14, 0x2000, v79
	ds_write2_b64 v20, v[22:23], v[46:47] offset0:66 offset1:99
	ds_write2_b64 v20, v[48:49], v[60:61] offset0:132 offset1:165
	ds_write2_b64 v20, v[50:51], v[54:55] offset0:198 offset1:231
	ds_write2_b64 v82, v[38:39], v[40:41] offset0:8 offset1:41
	ds_write_b64 v20, v[42:43] offset:2640
	ds_write2_b64 v20, v[12:13], v[16:17] offset1:33
	s_waitcnt lgkmcnt(0)
	s_barrier
	buffer_gl0_inv
	ds_read2_b64 v[16:19], v21 offset0:107 offset1:239
	ds_read2_b64 v[20:23], v81 offset0:86 offset1:218
	;; [unrolled: 1-line block ×3, first 2 shown]
	ds_read_b64 v[48:49], v79
	ds_read_b64 v[46:47], v78
	s_and_saveexec_b32 s1, s0
	s_cbranch_execz .LBB0_25
; %bb.24:
	ds_read_b64 v[38:39], v77
	ds_read_b64 v[40:41], v79 offset:5016
	ds_read_b64 v[42:43], v79 offset:7920
	;; [unrolled: 1-line block ×3, first 2 shown]
.LBB0_25:
	s_or_b32 exec_lo, exec_lo, s1
	s_and_saveexec_b32 s1, vcc_lo
	s_cbranch_execz .LBB0_28
; %bb.26:
	v_mul_i32_i24_e32 v44, 3, v76
	v_mov_b32_e32 v45, 0
	v_mul_u32_u24_e32 v52, 3, v74
	v_lshlrev_b64 v[50:51], 4, v[44:45]
	v_lshlrev_b32_e32 v44, 4, v52
	v_add_co_u32 v44, s1, s8, v44
	v_add_co_u32 v60, vcc_lo, s8, v50
	v_add_co_ci_u32_e32 v61, vcc_lo, s9, v51, vcc_lo
	v_add_co_ci_u32_e64 v55, null, s9, 0, s1
	v_add_co_u32 v50, vcc_lo, 0x1600, v60
	v_add_co_ci_u32_e32 v51, vcc_lo, 0, v61, vcc_lo
	v_add_co_u32 v52, vcc_lo, 0x1600, v44
	v_add_co_ci_u32_e32 v53, vcc_lo, 0, v55, vcc_lo
	;; [unrolled: 2-line block ×4, first 2 shown]
	s_clause 0x5
	global_load_dwordx4 v[60:63], v[54:55], off offset:1536
	global_load_dwordx4 v[64:67], v[52:53], off offset:32
	;; [unrolled: 1-line block ×6, first 2 shown]
	v_mul_hi_u32 v44, 0x691473a9, v74
	v_add_nc_u32_e32 v55, 0x84, v74
	v_mul_lo_u32 v53, s4, v59
	v_mul_lo_u32 v52, s5, v58
	v_mad_u64_u32 v[50:51], null, s4, v58, 0
	v_mul_hi_u32 v59, 0x691473a9, v55
	v_sub_nc_u32_e32 v54, v74, v44
	v_add3_u32 v51, v51, v53, v52
	v_lshrrev_b32_e32 v54, 1, v54
	v_sub_nc_u32_e32 v58, v55, v59
	v_add_nc_u32_e32 v52, 0x108, v74
	v_lshlrev_b64 v[50:51], 4, v[50:51]
	v_add_nc_u32_e32 v44, v54, v44
	v_lshrrev_b32_e32 v58, 1, v58
	v_lshlrev_b64 v[53:54], 4, v[56:57]
	v_cmp_gt_u32_e32 vcc_lo, 0x16b, v52
	v_lshrrev_b32_e32 v44, 8, v44
	v_add_nc_u32_e32 v56, v58, v59
	v_add_co_u32 v50, s1, s14, v50
	v_add_co_ci_u32_e64 v51, s1, s15, v51, s1
	v_mul_u32_u24_e32 v44, 0x16b, v44
	v_lshrrev_b32_e32 v59, 8, v56
	v_add_co_u32 v50, s1, v50, v53
	v_add_co_ci_u32_e64 v51, s1, v51, v54, s1
	v_sub_nc_u32_e32 v102, v74, v44
	v_mul_u32_u24_e32 v44, 0x16b, v59
	v_add_nc_u32_e32 v105, 0x2d6, v102
	v_mad_u64_u32 v[53:54], null, s2, v102, 0
	v_sub_nc_u32_e32 v44, v55, v44
	v_add_nc_u32_e32 v104, 0x16b, v102
	v_mad_u64_u32 v[57:58], null, s2, v105, 0
	v_add_nc_u32_e32 v106, 0x441, v102
	v_mad_u32_u24 v107, 0x5ac, v59, v44
	v_mov_b32_e32 v44, v54
	v_mad_u64_u32 v[55:56], null, s2, v104, 0
	v_mad_u64_u32 v[72:73], null, s2, v106, 0
	v_mov_b32_e32 v54, v58
	v_mad_u64_u32 v[102:103], null, s3, v102, v[44:45]
	v_mad_u64_u32 v[100:101], null, s2, v107, 0
	v_mov_b32_e32 v44, v56
	v_add_nc_u32_e32 v108, 0x16b, v107
	v_add_nc_u32_e32 v110, 0x441, v107
	;; [unrolled: 1-line block ×3, first 2 shown]
	s_waitcnt vmcnt(5)
	v_mul_f64 v[88:89], v[8:9], v[60:61]
	s_waitcnt vmcnt(4)
	v_mul_f64 v[90:91], v[4:5], v[64:65]
	v_mul_f64 v[8:9], v[8:9], v[62:63]
	v_mul_f64 v[4:5], v[4:5], v[66:67]
	s_waitcnt vmcnt(1)
	v_mul_f64 v[96:97], v[0:1], v[82:83]
	s_waitcnt lgkmcnt(3)
	v_mul_f64 v[82:83], v[20:21], v[82:83]
	v_mul_f64 v[92:93], v[2:3], v[70:71]
	;; [unrolled: 1-line block ×4, first 2 shown]
	s_waitcnt vmcnt(0)
	v_mul_f64 v[98:99], v[6:7], v[86:87]
	v_mul_f64 v[70:71], v[22:23], v[70:71]
	;; [unrolled: 1-line block ×3, first 2 shown]
	v_fma_f64 v[62:63], v[16:17], v[62:63], v[88:89]
	s_waitcnt lgkmcnt(2)
	v_fma_f64 v[58:59], v[12:13], v[66:67], v[90:91]
	v_fma_f64 v[8:9], v[16:17], v[60:61], -v[8:9]
	v_fma_f64 v[4:5], v[12:13], v[64:65], -v[4:5]
	;; [unrolled: 1-line block ×3, first 2 shown]
	v_fma_f64 v[0:1], v[0:1], v[80:81], v[82:83]
	v_fma_f64 v[12:13], v[22:23], v[68:69], -v[92:93]
	v_fma_f64 v[16:17], v[18:19], v[78:79], v[94:95]
	v_fma_f64 v[10:11], v[18:19], v[76:77], -v[10:11]
	v_fma_f64 v[18:19], v[14:15], v[84:85], -v[98:99]
	v_fma_f64 v[2:3], v[2:3], v[68:69], v[70:71]
	v_fma_f64 v[6:7], v[14:15], v[86:87], v[6:7]
	v_mad_u64_u32 v[66:67], null, s3, v104, v[44:45]
	v_mad_u64_u32 v[67:68], null, s3, v105, v[54:55]
	v_mov_b32_e32 v14, v73
	v_mad_u64_u32 v[22:23], null, s2, v108, 0
	v_mad_u64_u32 v[64:65], null, s2, v110, 0
	;; [unrolled: 1-line block ×3, first 2 shown]
	v_add_f64 v[68:69], v[62:63], -v[58:59]
	v_mov_b32_e32 v15, v101
	v_add_f64 v[4:5], v[8:9], -v[4:5]
	s_waitcnt lgkmcnt(1)
	v_add_f64 v[20:21], v[48:49], -v[20:21]
	v_add_f64 v[70:71], v[36:37], -v[0:1]
	s_waitcnt lgkmcnt(0)
	v_add_f64 v[76:77], v[46:47], -v[12:13]
	v_mov_b32_e32 v73, v14
	v_mov_b32_e32 v56, v66
	v_add_f64 v[0:1], v[10:11], -v[18:19]
	v_add_f64 v[78:79], v[34:35], -v[2:3]
	;; [unrolled: 1-line block ×3, first 2 shown]
	v_mad_u64_u32 v[6:7], null, s3, v107, v[15:16]
	v_mov_b32_e32 v7, v23
	v_mov_b32_e32 v58, v67
	;; [unrolled: 1-line block ×3, first 2 shown]
	v_mad_u64_u32 v[60:61], null, s2, v109, 0
	v_mad_u64_u32 v[14:15], null, s3, v108, v[7:8]
	v_mov_b32_e32 v54, v102
	v_mov_b32_e32 v101, v6
	v_fma_f64 v[62:63], v[62:63], 2.0, -v[68:69]
	v_fma_f64 v[8:9], v[8:9], 2.0, -v[4:5]
	;; [unrolled: 1-line block ×5, first 2 shown]
	v_mov_b32_e32 v12, v61
	v_add_f64 v[6:7], v[20:21], -v[68:69]
	v_fma_f64 v[66:67], v[10:11], 2.0, -v[0:1]
	v_fma_f64 v[34:35], v[34:35], 2.0, -v[78:79]
	;; [unrolled: 1-line block ×3, first 2 shown]
	v_mad_u64_u32 v[10:11], null, s3, v110, v[13:14]
	v_add_f64 v[4:5], v[70:71], v[4:5]
	v_lshlrev_b64 v[18:19], 4, v[53:54]
	v_mad_u64_u32 v[53:54], null, s3, v109, v[12:13]
	v_mov_b32_e32 v23, v14
	v_add_f64 v[2:3], v[76:77], -v[2:3]
	v_mov_b32_e32 v65, v10
	v_add_f64 v[0:1], v[78:79], v[0:1]
	v_lshlrev_b64 v[54:55], 4, v[55:56]
	v_lshlrev_b64 v[56:57], 4, v[57:58]
	;; [unrolled: 1-line block ×3, first 2 shown]
	v_add_co_u32 v72, s1, v50, v18
	v_add_f64 v[10:11], v[48:49], -v[8:9]
	v_add_f64 v[8:9], v[36:37], -v[62:63]
	v_add_co_ci_u32_e64 v73, s1, v51, v19, s1
	v_add_f64 v[14:15], v[46:47], -v[66:67]
	v_lshlrev_b64 v[62:63], 4, v[22:23]
	v_add_f64 v[12:13], v[34:35], -v[16:17]
	v_fma_f64 v[18:19], v[20:21], 2.0, -v[6:7]
	v_mov_b32_e32 v61, v53
	v_fma_f64 v[16:17], v[70:71], 2.0, -v[4:5]
	v_add_co_u32 v53, s1, v50, v54
	v_add_co_ci_u32_e64 v54, s1, v51, v55, s1
	v_lshlrev_b64 v[80:81], 4, v[100:101]
	v_add_co_u32 v55, s1, v50, v56
	v_add_co_ci_u32_e64 v56, s1, v51, v57, s1
	v_add_co_u32 v57, s1, v50, v58
	v_add_co_ci_u32_e64 v58, s1, v51, v59, s1
	v_fma_f64 v[22:23], v[48:49], 2.0, -v[10:11]
	v_fma_f64 v[20:21], v[36:37], 2.0, -v[8:9]
	;; [unrolled: 1-line block ×4, first 2 shown]
	v_lshlrev_b64 v[59:60], 4, v[60:61]
	v_fma_f64 v[46:47], v[34:35], 2.0, -v[12:13]
	v_fma_f64 v[34:35], v[78:79], 2.0, -v[0:1]
	v_add_co_u32 v66, s1, v50, v80
	v_add_co_ci_u32_e64 v67, s1, v51, v81, s1
	v_lshlrev_b64 v[64:65], 4, v[64:65]
	v_add_co_u32 v61, s1, v50, v62
	v_add_co_ci_u32_e64 v62, s1, v51, v63, s1
	v_add_co_u32 v59, s1, v50, v59
	v_add_co_ci_u32_e64 v60, s1, v51, v60, s1
	;; [unrolled: 2-line block ×3, first 2 shown]
	global_store_dwordx4 v[72:73], v[20:23], off
	global_store_dwordx4 v[53:54], v[16:19], off
	;; [unrolled: 1-line block ×8, first 2 shown]
	s_and_b32 exec_lo, exec_lo, vcc_lo
	s_cbranch_execz .LBB0_28
; %bb.27:
	v_add_nc_u32_e32 v0, 0xffffff9d, v74
	v_cndmask_b32_e64 v0, v0, v75, s0
	v_mul_i32_i24_e32 v44, 3, v0
	v_lshlrev_b64 v[0:1], 4, v[44:45]
	v_add_co_u32 v2, vcc_lo, s8, v0
	v_add_co_ci_u32_e32 v3, vcc_lo, s9, v1, vcc_lo
	v_add_co_u32 v0, vcc_lo, 0x1000, v2
	v_add_co_ci_u32_e32 v1, vcc_lo, 0, v3, vcc_lo
	;; [unrolled: 2-line block ×3, first 2 shown]
	s_clause 0x2
	global_load_dwordx4 v[0:3], v[0:1], off offset:1536
	global_load_dwordx4 v[4:7], v[8:9], off offset:16
	;; [unrolled: 1-line block ×3, first 2 shown]
	s_waitcnt vmcnt(2)
	v_mul_f64 v[12:13], v[40:41], v[2:3]
	v_mul_f64 v[2:3], v[30:31], v[2:3]
	s_waitcnt vmcnt(1)
	v_mul_f64 v[14:15], v[42:43], v[6:7]
	v_mul_f64 v[6:7], v[32:33], v[6:7]
	;; [unrolled: 3-line block ×3, first 2 shown]
	v_fma_f64 v[12:13], v[30:31], v[0:1], v[12:13]
	v_fma_f64 v[0:1], v[40:41], v[0:1], -v[2:3]
	v_fma_f64 v[2:3], v[32:33], v[4:5], v[14:15]
	v_fma_f64 v[4:5], v[42:43], v[4:5], -v[6:7]
	;; [unrolled: 2-line block ×3, first 2 shown]
	v_add_nc_u32_e32 v27, 0x3de, v74
	v_add_nc_u32_e32 v26, 0x273, v74
	v_mad_u64_u32 v[22:23], null, s2, v27, 0
	v_mad_u64_u32 v[20:21], null, s2, v26, 0
	v_add_f64 v[10:11], v[28:29], -v[2:3]
	v_add_f64 v[16:17], v[38:39], -v[4:5]
	;; [unrolled: 1-line block ×4, first 2 shown]
	v_fma_f64 v[14:15], v[28:29], 2.0, -v[10:11]
	v_fma_f64 v[18:19], v[38:39], 2.0, -v[16:17]
	;; [unrolled: 1-line block ×4, first 2 shown]
	v_add_nc_u32_e32 v28, 0x549, v74
	v_add_f64 v[0:1], v[10:11], v[4:5]
	v_mad_u64_u32 v[12:13], null, s2, v52, 0
	v_add_f64 v[2:3], v[16:17], -v[2:3]
	v_mad_u64_u32 v[24:25], null, s2, v28, 0
	v_add_f64 v[4:5], v[14:15], -v[6:7]
	v_add_f64 v[6:7], v[18:19], -v[8:9]
	v_mad_u64_u32 v[8:9], null, s3, v52, v[13:14]
	v_mov_b32_e32 v9, v23
	v_mov_b32_e32 v13, v25
	v_mad_u64_u32 v[25:26], null, s3, v26, v[21:22]
	v_mad_u64_u32 v[26:27], null, s3, v27, v[9:10]
	;; [unrolled: 1-line block ×3, first 2 shown]
	v_mov_b32_e32 v13, v8
	v_mov_b32_e32 v21, v25
	v_fma_f64 v[8:9], v[10:11], 2.0, -v[0:1]
	v_fma_f64 v[10:11], v[16:17], 2.0, -v[2:3]
	v_mov_b32_e32 v23, v26
	v_lshlrev_b64 v[28:29], 4, v[12:13]
	v_lshlrev_b64 v[16:17], 4, v[20:21]
	v_mov_b32_e32 v25, v27
	v_fma_f64 v[12:13], v[14:15], 2.0, -v[4:5]
	v_fma_f64 v[14:15], v[18:19], 2.0, -v[6:7]
	v_lshlrev_b64 v[18:19], 4, v[22:23]
	v_add_co_u32 v22, vcc_lo, v50, v28
	v_add_co_ci_u32_e32 v23, vcc_lo, v51, v29, vcc_lo
	v_lshlrev_b64 v[20:21], 4, v[24:25]
	v_add_co_u32 v16, vcc_lo, v50, v16
	v_add_co_ci_u32_e32 v17, vcc_lo, v51, v17, vcc_lo
	v_add_co_u32 v18, vcc_lo, v50, v18
	v_add_co_ci_u32_e32 v19, vcc_lo, v51, v19, vcc_lo
	;; [unrolled: 2-line block ×3, first 2 shown]
	global_store_dwordx4 v[22:23], v[12:15], off
	global_store_dwordx4 v[16:17], v[8:11], off
	;; [unrolled: 1-line block ×4, first 2 shown]
.LBB0_28:
	s_endpgm
	.section	.rodata,"a",@progbits
	.p2align	6, 0x0
	.amdhsa_kernel fft_rtc_back_len1452_factors_11_3_11_4_wgs_132_tpt_132_halfLds_dp_op_CI_CI_sbrr_dirReg
		.amdhsa_group_segment_fixed_size 0
		.amdhsa_private_segment_fixed_size 0
		.amdhsa_kernarg_size 104
		.amdhsa_user_sgpr_count 6
		.amdhsa_user_sgpr_private_segment_buffer 1
		.amdhsa_user_sgpr_dispatch_ptr 0
		.amdhsa_user_sgpr_queue_ptr 0
		.amdhsa_user_sgpr_kernarg_segment_ptr 1
		.amdhsa_user_sgpr_dispatch_id 0
		.amdhsa_user_sgpr_flat_scratch_init 0
		.amdhsa_user_sgpr_private_segment_size 0
		.amdhsa_wavefront_size32 1
		.amdhsa_uses_dynamic_stack 0
		.amdhsa_system_sgpr_private_segment_wavefront_offset 0
		.amdhsa_system_sgpr_workgroup_id_x 1
		.amdhsa_system_sgpr_workgroup_id_y 0
		.amdhsa_system_sgpr_workgroup_id_z 0
		.amdhsa_system_sgpr_workgroup_info 0
		.amdhsa_system_vgpr_workitem_id 0
		.amdhsa_next_free_vgpr 147
		.amdhsa_next_free_sgpr 42
		.amdhsa_reserve_vcc 1
		.amdhsa_reserve_flat_scratch 0
		.amdhsa_float_round_mode_32 0
		.amdhsa_float_round_mode_16_64 0
		.amdhsa_float_denorm_mode_32 3
		.amdhsa_float_denorm_mode_16_64 3
		.amdhsa_dx10_clamp 1
		.amdhsa_ieee_mode 1
		.amdhsa_fp16_overflow 0
		.amdhsa_workgroup_processor_mode 1
		.amdhsa_memory_ordered 1
		.amdhsa_forward_progress 0
		.amdhsa_shared_vgpr_count 0
		.amdhsa_exception_fp_ieee_invalid_op 0
		.amdhsa_exception_fp_denorm_src 0
		.amdhsa_exception_fp_ieee_div_zero 0
		.amdhsa_exception_fp_ieee_overflow 0
		.amdhsa_exception_fp_ieee_underflow 0
		.amdhsa_exception_fp_ieee_inexact 0
		.amdhsa_exception_int_div_zero 0
	.end_amdhsa_kernel
	.text
.Lfunc_end0:
	.size	fft_rtc_back_len1452_factors_11_3_11_4_wgs_132_tpt_132_halfLds_dp_op_CI_CI_sbrr_dirReg, .Lfunc_end0-fft_rtc_back_len1452_factors_11_3_11_4_wgs_132_tpt_132_halfLds_dp_op_CI_CI_sbrr_dirReg
                                        ; -- End function
	.section	.AMDGPU.csdata,"",@progbits
; Kernel info:
; codeLenInByte = 11908
; NumSgprs: 44
; NumVgprs: 147
; ScratchSize: 0
; MemoryBound: 1
; FloatMode: 240
; IeeeMode: 1
; LDSByteSize: 0 bytes/workgroup (compile time only)
; SGPRBlocks: 5
; VGPRBlocks: 18
; NumSGPRsForWavesPerEU: 44
; NumVGPRsForWavesPerEU: 147
; Occupancy: 6
; WaveLimiterHint : 1
; COMPUTE_PGM_RSRC2:SCRATCH_EN: 0
; COMPUTE_PGM_RSRC2:USER_SGPR: 6
; COMPUTE_PGM_RSRC2:TRAP_HANDLER: 0
; COMPUTE_PGM_RSRC2:TGID_X_EN: 1
; COMPUTE_PGM_RSRC2:TGID_Y_EN: 0
; COMPUTE_PGM_RSRC2:TGID_Z_EN: 0
; COMPUTE_PGM_RSRC2:TIDIG_COMP_CNT: 0
	.text
	.p2alignl 6, 3214868480
	.fill 48, 4, 3214868480
	.type	__hip_cuid_5b51cd9b78d80e46,@object ; @__hip_cuid_5b51cd9b78d80e46
	.section	.bss,"aw",@nobits
	.globl	__hip_cuid_5b51cd9b78d80e46
__hip_cuid_5b51cd9b78d80e46:
	.byte	0                               ; 0x0
	.size	__hip_cuid_5b51cd9b78d80e46, 1

	.ident	"AMD clang version 19.0.0git (https://github.com/RadeonOpenCompute/llvm-project roc-6.4.0 25133 c7fe45cf4b819c5991fe208aaa96edf142730f1d)"
	.section	".note.GNU-stack","",@progbits
	.addrsig
	.addrsig_sym __hip_cuid_5b51cd9b78d80e46
	.amdgpu_metadata
---
amdhsa.kernels:
  - .args:
      - .actual_access:  read_only
        .address_space:  global
        .offset:         0
        .size:           8
        .value_kind:     global_buffer
      - .offset:         8
        .size:           8
        .value_kind:     by_value
      - .actual_access:  read_only
        .address_space:  global
        .offset:         16
        .size:           8
        .value_kind:     global_buffer
      - .actual_access:  read_only
        .address_space:  global
        .offset:         24
        .size:           8
        .value_kind:     global_buffer
      - .actual_access:  read_only
        .address_space:  global
        .offset:         32
        .size:           8
        .value_kind:     global_buffer
      - .offset:         40
        .size:           8
        .value_kind:     by_value
      - .actual_access:  read_only
        .address_space:  global
        .offset:         48
        .size:           8
        .value_kind:     global_buffer
      - .actual_access:  read_only
        .address_space:  global
        .offset:         56
        .size:           8
        .value_kind:     global_buffer
      - .offset:         64
        .size:           4
        .value_kind:     by_value
      - .actual_access:  read_only
        .address_space:  global
        .offset:         72
        .size:           8
        .value_kind:     global_buffer
      - .actual_access:  read_only
        .address_space:  global
        .offset:         80
        .size:           8
        .value_kind:     global_buffer
      - .actual_access:  read_only
        .address_space:  global
        .offset:         88
        .size:           8
        .value_kind:     global_buffer
      - .actual_access:  write_only
        .address_space:  global
        .offset:         96
        .size:           8
        .value_kind:     global_buffer
    .group_segment_fixed_size: 0
    .kernarg_segment_align: 8
    .kernarg_segment_size: 104
    .language:       OpenCL C
    .language_version:
      - 2
      - 0
    .max_flat_workgroup_size: 132
    .name:           fft_rtc_back_len1452_factors_11_3_11_4_wgs_132_tpt_132_halfLds_dp_op_CI_CI_sbrr_dirReg
    .private_segment_fixed_size: 0
    .sgpr_count:     44
    .sgpr_spill_count: 0
    .symbol:         fft_rtc_back_len1452_factors_11_3_11_4_wgs_132_tpt_132_halfLds_dp_op_CI_CI_sbrr_dirReg.kd
    .uniform_work_group_size: 1
    .uses_dynamic_stack: false
    .vgpr_count:     147
    .vgpr_spill_count: 0
    .wavefront_size: 32
    .workgroup_processor_mode: 1
amdhsa.target:   amdgcn-amd-amdhsa--gfx1030
amdhsa.version:
  - 1
  - 2
...

	.end_amdgpu_metadata
